;; amdgpu-corpus repo=ROCm/rocFFT kind=compiled arch=gfx1030 opt=O3
	.text
	.amdgcn_target "amdgcn-amd-amdhsa--gfx1030"
	.amdhsa_code_object_version 6
	.protected	fft_rtc_fwd_len3888_factors_16_3_3_3_3_3_wgs_324_tpt_324_halfLds_dp_op_CI_CI_unitstride_sbrr_dirReg ; -- Begin function fft_rtc_fwd_len3888_factors_16_3_3_3_3_3_wgs_324_tpt_324_halfLds_dp_op_CI_CI_unitstride_sbrr_dirReg
	.globl	fft_rtc_fwd_len3888_factors_16_3_3_3_3_3_wgs_324_tpt_324_halfLds_dp_op_CI_CI_unitstride_sbrr_dirReg
	.p2align	8
	.type	fft_rtc_fwd_len3888_factors_16_3_3_3_3_3_wgs_324_tpt_324_halfLds_dp_op_CI_CI_unitstride_sbrr_dirReg,@function
fft_rtc_fwd_len3888_factors_16_3_3_3_3_3_wgs_324_tpt_324_halfLds_dp_op_CI_CI_unitstride_sbrr_dirReg: ; @fft_rtc_fwd_len3888_factors_16_3_3_3_3_3_wgs_324_tpt_324_halfLds_dp_op_CI_CI_unitstride_sbrr_dirReg
; %bb.0:
	s_clause 0x2
	s_load_dwordx4 s[12:15], s[4:5], 0x0
	s_load_dwordx4 s[8:11], s[4:5], 0x58
	;; [unrolled: 1-line block ×3, first 2 shown]
	v_mul_u32_u24_e32 v1, 0x195, v0
	v_mov_b32_e32 v4, 0
	v_mov_b32_e32 v5, 0
	v_lshrrev_b32_e32 v2, 17, v1
	v_mov_b32_e32 v1, 0
	v_add_nc_u32_e32 v6, s6, v2
	v_mov_b32_e32 v7, v1
	s_waitcnt lgkmcnt(0)
	v_cmp_lt_u64_e64 s0, s[14:15], 2
	s_and_b32 vcc_lo, exec_lo, s0
	s_cbranch_vccnz .LBB0_8
; %bb.1:
	s_load_dwordx2 s[0:1], s[4:5], 0x10
	v_mov_b32_e32 v4, 0
	v_mov_b32_e32 v5, 0
	s_add_u32 s2, s18, 8
	s_addc_u32 s3, s19, 0
	s_add_u32 s6, s16, 8
	s_addc_u32 s7, s17, 0
	v_mov_b32_e32 v65, v5
	v_mov_b32_e32 v64, v4
	s_mov_b64 s[22:23], 1
	s_waitcnt lgkmcnt(0)
	s_add_u32 s20, s0, 8
	s_addc_u32 s21, s1, 0
.LBB0_2:                                ; =>This Inner Loop Header: Depth=1
	s_load_dwordx2 s[24:25], s[20:21], 0x0
                                        ; implicit-def: $vgpr66_vgpr67
	s_mov_b32 s0, exec_lo
	s_waitcnt lgkmcnt(0)
	v_or_b32_e32 v2, s25, v7
	v_cmpx_ne_u64_e32 0, v[1:2]
	s_xor_b32 s1, exec_lo, s0
	s_cbranch_execz .LBB0_4
; %bb.3:                                ;   in Loop: Header=BB0_2 Depth=1
	v_cvt_f32_u32_e32 v2, s24
	v_cvt_f32_u32_e32 v3, s25
	s_sub_u32 s0, 0, s24
	s_subb_u32 s26, 0, s25
	v_fmac_f32_e32 v2, 0x4f800000, v3
	v_rcp_f32_e32 v2, v2
	v_mul_f32_e32 v2, 0x5f7ffffc, v2
	v_mul_f32_e32 v3, 0x2f800000, v2
	v_trunc_f32_e32 v3, v3
	v_fmac_f32_e32 v2, 0xcf800000, v3
	v_cvt_u32_f32_e32 v3, v3
	v_cvt_u32_f32_e32 v2, v2
	v_mul_lo_u32 v8, s0, v3
	v_mul_hi_u32 v9, s0, v2
	v_mul_lo_u32 v10, s26, v2
	v_add_nc_u32_e32 v8, v9, v8
	v_mul_lo_u32 v9, s0, v2
	v_add_nc_u32_e32 v8, v8, v10
	v_mul_hi_u32 v10, v2, v9
	v_mul_lo_u32 v11, v2, v8
	v_mul_hi_u32 v12, v2, v8
	v_mul_hi_u32 v13, v3, v9
	v_mul_lo_u32 v9, v3, v9
	v_mul_hi_u32 v14, v3, v8
	v_mul_lo_u32 v8, v3, v8
	v_add_co_u32 v10, vcc_lo, v10, v11
	v_add_co_ci_u32_e32 v11, vcc_lo, 0, v12, vcc_lo
	v_add_co_u32 v9, vcc_lo, v10, v9
	v_add_co_ci_u32_e32 v9, vcc_lo, v11, v13, vcc_lo
	v_add_co_ci_u32_e32 v10, vcc_lo, 0, v14, vcc_lo
	v_add_co_u32 v8, vcc_lo, v9, v8
	v_add_co_ci_u32_e32 v9, vcc_lo, 0, v10, vcc_lo
	v_add_co_u32 v2, vcc_lo, v2, v8
	v_add_co_ci_u32_e32 v3, vcc_lo, v3, v9, vcc_lo
	v_mul_hi_u32 v8, s0, v2
	v_mul_lo_u32 v10, s26, v2
	v_mul_lo_u32 v9, s0, v3
	v_add_nc_u32_e32 v8, v8, v9
	v_mul_lo_u32 v9, s0, v2
	v_add_nc_u32_e32 v8, v8, v10
	v_mul_hi_u32 v10, v2, v9
	v_mul_lo_u32 v11, v2, v8
	v_mul_hi_u32 v12, v2, v8
	v_mul_hi_u32 v13, v3, v9
	v_mul_lo_u32 v9, v3, v9
	v_mul_hi_u32 v14, v3, v8
	v_mul_lo_u32 v8, v3, v8
	v_add_co_u32 v10, vcc_lo, v10, v11
	v_add_co_ci_u32_e32 v11, vcc_lo, 0, v12, vcc_lo
	v_add_co_u32 v9, vcc_lo, v10, v9
	v_add_co_ci_u32_e32 v9, vcc_lo, v11, v13, vcc_lo
	v_add_co_ci_u32_e32 v10, vcc_lo, 0, v14, vcc_lo
	v_add_co_u32 v8, vcc_lo, v9, v8
	v_add_co_ci_u32_e32 v9, vcc_lo, 0, v10, vcc_lo
	v_add_co_u32 v8, vcc_lo, v2, v8
	v_add_co_ci_u32_e32 v10, vcc_lo, v3, v9, vcc_lo
	v_mul_hi_u32 v12, v6, v8
	v_mad_u64_u32 v[8:9], null, v7, v8, 0
	v_mad_u64_u32 v[2:3], null, v6, v10, 0
	v_mad_u64_u32 v[10:11], null, v7, v10, 0
	v_add_co_u32 v2, vcc_lo, v12, v2
	v_add_co_ci_u32_e32 v3, vcc_lo, 0, v3, vcc_lo
	v_add_co_u32 v2, vcc_lo, v2, v8
	v_add_co_ci_u32_e32 v2, vcc_lo, v3, v9, vcc_lo
	v_add_co_ci_u32_e32 v3, vcc_lo, 0, v11, vcc_lo
	v_add_co_u32 v8, vcc_lo, v2, v10
	v_add_co_ci_u32_e32 v9, vcc_lo, 0, v3, vcc_lo
	v_mul_lo_u32 v10, s25, v8
	v_mad_u64_u32 v[2:3], null, s24, v8, 0
	v_mul_lo_u32 v11, s24, v9
	v_sub_co_u32 v2, vcc_lo, v6, v2
	v_add3_u32 v3, v3, v11, v10
	v_sub_nc_u32_e32 v10, v7, v3
	v_subrev_co_ci_u32_e64 v10, s0, s25, v10, vcc_lo
	v_add_co_u32 v11, s0, v8, 2
	v_add_co_ci_u32_e64 v12, s0, 0, v9, s0
	v_sub_co_u32 v13, s0, v2, s24
	v_sub_co_ci_u32_e32 v3, vcc_lo, v7, v3, vcc_lo
	v_subrev_co_ci_u32_e64 v10, s0, 0, v10, s0
	v_cmp_le_u32_e32 vcc_lo, s24, v13
	v_cmp_eq_u32_e64 s0, s25, v3
	v_cndmask_b32_e64 v13, 0, -1, vcc_lo
	v_cmp_le_u32_e32 vcc_lo, s25, v10
	v_cndmask_b32_e64 v14, 0, -1, vcc_lo
	v_cmp_le_u32_e32 vcc_lo, s24, v2
	;; [unrolled: 2-line block ×3, first 2 shown]
	v_cndmask_b32_e64 v15, 0, -1, vcc_lo
	v_cmp_eq_u32_e32 vcc_lo, s25, v10
	v_cndmask_b32_e64 v2, v15, v2, s0
	v_cndmask_b32_e32 v10, v14, v13, vcc_lo
	v_add_co_u32 v13, vcc_lo, v8, 1
	v_add_co_ci_u32_e32 v14, vcc_lo, 0, v9, vcc_lo
	v_cmp_ne_u32_e32 vcc_lo, 0, v10
	v_cndmask_b32_e32 v3, v14, v12, vcc_lo
	v_cndmask_b32_e32 v10, v13, v11, vcc_lo
	v_cmp_ne_u32_e32 vcc_lo, 0, v2
	v_cndmask_b32_e32 v67, v9, v3, vcc_lo
	v_cndmask_b32_e32 v66, v8, v10, vcc_lo
.LBB0_4:                                ;   in Loop: Header=BB0_2 Depth=1
	s_andn2_saveexec_b32 s0, s1
	s_cbranch_execz .LBB0_6
; %bb.5:                                ;   in Loop: Header=BB0_2 Depth=1
	v_cvt_f32_u32_e32 v2, s24
	s_sub_i32 s1, 0, s24
	v_mov_b32_e32 v67, v1
	v_rcp_iflag_f32_e32 v2, v2
	v_mul_f32_e32 v2, 0x4f7ffffe, v2
	v_cvt_u32_f32_e32 v2, v2
	v_mul_lo_u32 v3, s1, v2
	v_mul_hi_u32 v3, v2, v3
	v_add_nc_u32_e32 v2, v2, v3
	v_mul_hi_u32 v2, v6, v2
	v_mul_lo_u32 v3, v2, s24
	v_add_nc_u32_e32 v8, 1, v2
	v_sub_nc_u32_e32 v3, v6, v3
	v_subrev_nc_u32_e32 v9, s24, v3
	v_cmp_le_u32_e32 vcc_lo, s24, v3
	v_cndmask_b32_e32 v3, v3, v9, vcc_lo
	v_cndmask_b32_e32 v2, v2, v8, vcc_lo
	v_cmp_le_u32_e32 vcc_lo, s24, v3
	v_add_nc_u32_e32 v8, 1, v2
	v_cndmask_b32_e32 v66, v2, v8, vcc_lo
.LBB0_6:                                ;   in Loop: Header=BB0_2 Depth=1
	s_or_b32 exec_lo, exec_lo, s0
	v_mul_lo_u32 v8, v67, s24
	v_mul_lo_u32 v9, v66, s25
	s_load_dwordx2 s[0:1], s[6:7], 0x0
	v_mad_u64_u32 v[2:3], null, v66, s24, 0
	s_load_dwordx2 s[24:25], s[2:3], 0x0
	s_add_u32 s22, s22, 1
	s_addc_u32 s23, s23, 0
	s_add_u32 s2, s2, 8
	s_addc_u32 s3, s3, 0
	s_add_u32 s6, s6, 8
	v_add3_u32 v3, v3, v9, v8
	v_sub_co_u32 v2, vcc_lo, v6, v2
	s_addc_u32 s7, s7, 0
	s_add_u32 s20, s20, 8
	v_sub_co_ci_u32_e32 v3, vcc_lo, v7, v3, vcc_lo
	s_addc_u32 s21, s21, 0
	s_waitcnt lgkmcnt(0)
	v_mul_lo_u32 v6, s0, v3
	v_mul_lo_u32 v7, s1, v2
	v_mad_u64_u32 v[4:5], null, s0, v2, v[4:5]
	v_mul_lo_u32 v3, s24, v3
	v_mul_lo_u32 v8, s25, v2
	v_mad_u64_u32 v[64:65], null, s24, v2, v[64:65]
	v_cmp_ge_u64_e64 s0, s[22:23], s[14:15]
	v_add3_u32 v5, v7, v5, v6
	v_add3_u32 v65, v8, v65, v3
	s_and_b32 vcc_lo, exec_lo, s0
	s_cbranch_vccnz .LBB0_9
; %bb.7:                                ;   in Loop: Header=BB0_2 Depth=1
	v_mov_b32_e32 v6, v66
	v_mov_b32_e32 v7, v67
	s_branch .LBB0_2
.LBB0_8:
	v_mov_b32_e32 v65, v5
	v_mov_b32_e32 v67, v7
	;; [unrolled: 1-line block ×4, first 2 shown]
.LBB0_9:
	s_load_dwordx2 s[0:1], s[4:5], 0x28
	v_mul_hi_u32_u24_e32 v1, 0xca4588, v0
	s_lshl_b64 s[4:5], s[14:15], 3
                                        ; implicit-def: $vgpr22_vgpr23
                                        ; implicit-def: $vgpr14_vgpr15
                                        ; implicit-def: $vgpr26_vgpr27
                                        ; implicit-def: $vgpr2_vgpr3
                                        ; implicit-def: $vgpr34_vgpr35
                                        ; implicit-def: $vgpr30_vgpr31
                                        ; implicit-def: $vgpr10_vgpr11
                                        ; implicit-def: $vgpr46_vgpr47
                                        ; implicit-def: $vgpr54_vgpr55
                                        ; implicit-def: $vgpr38_vgpr39
                                        ; implicit-def: $vgpr62_vgpr63
                                        ; implicit-def: $vgpr50_vgpr51
                                        ; implicit-def: $vgpr58_vgpr59
                                        ; implicit-def: $vgpr42_vgpr43
                                        ; implicit-def: $vgpr18_vgpr19
                                        ; implicit-def: $vgpr6_vgpr7
	s_add_u32 s2, s18, s4
	s_addc_u32 s3, s19, s5
	v_mul_u32_u24_e32 v1, 0x144, v1
	v_sub_nc_u32_e32 v68, v0, v1
	s_waitcnt lgkmcnt(0)
	v_cmp_gt_u64_e32 vcc_lo, s[0:1], v[66:67]
	v_cmp_gt_u32_e64 s0, 0xf3, v68
	s_and_b32 s1, vcc_lo, s0
	s_and_saveexec_b32 s6, s1
	s_cbranch_execz .LBB0_11
; %bb.10:
	s_add_u32 s4, s16, s4
	s_addc_u32 s5, s17, s5
	v_mov_b32_e32 v69, 0
	s_load_dwordx2 s[4:5], s[4:5], 0x0
	s_waitcnt lgkmcnt(0)
	v_mul_lo_u32 v2, s5, v66
	v_mul_lo_u32 v3, s4, v67
	v_mad_u64_u32 v[0:1], null, s4, v66, 0
	v_add3_u32 v1, v1, v3, v2
	v_lshlrev_b64 v[2:3], 4, v[4:5]
	v_lshlrev_b64 v[0:1], 4, v[0:1]
	v_add_co_u32 v4, s1, s8, v0
	v_add_co_ci_u32_e64 v5, s1, s9, v1, s1
	v_lshlrev_b64 v[0:1], 4, v[68:69]
	v_add_co_u32 v2, s1, v4, v2
	v_add_co_ci_u32_e64 v3, s1, v5, v3, s1
	v_add_co_u32 v36, s1, v2, v0
	v_add_co_ci_u32_e64 v37, s1, v3, v1, s1
	;; [unrolled: 2-line block ×11, first 2 shown]
	s_clause 0x9
	global_load_dwordx4 v[4:7], v[36:37], off
	global_load_dwordx4 v[20:23], v[0:1], off offset:1840
	global_load_dwordx4 v[12:15], v[2:3], off offset:1632
	;; [unrolled: 1-line block ×9, first 2 shown]
	v_add_co_u32 v38, s1, 0x9000, v36
	v_add_co_ci_u32_e64 v39, s1, 0, v37, s1
	v_add_co_u32 v48, s1, 0xa000, v36
	v_add_co_ci_u32_e64 v49, s1, 0, v37, s1
	;; [unrolled: 2-line block ×6, first 2 shown]
	s_clause 0x5
	global_load_dwordx4 v[44:47], v[38:39], off offset:2016
	global_load_dwordx4 v[52:55], v[48:49], off offset:1808
	;; [unrolled: 1-line block ×6, first 2 shown]
.LBB0_11:
	s_or_b32 exec_lo, exec_lo, s6
	s_waitcnt vmcnt(6)
	v_add_f64 v[40:41], v[20:21], -v[40:41]
	v_add_f64 v[42:43], v[22:23], -v[42:43]
	s_waitcnt vmcnt(2)
	v_add_f64 v[60:61], v[32:33], -v[60:61]
	v_add_f64 v[62:63], v[34:35], -v[62:63]
	;; [unrolled: 1-line block ×4, first 2 shown]
	s_waitcnt vmcnt(0)
	v_add_f64 v[58:59], v[30:31], -v[58:59]
	v_add_f64 v[56:57], v[28:29], -v[56:57]
	;; [unrolled: 1-line block ×6, first 2 shown]
	s_mov_b32 s4, 0x667f3bcd
	s_mov_b32 s5, 0x3fe6a09e
	;; [unrolled: 1-line block ×4, first 2 shown]
	v_add_f64 v[79:80], v[0:1], -v[36:37]
	v_add_f64 v[81:82], v[2:3], -v[38:39]
	v_fma_f64 v[69:70], v[20:21], 2.0, -v[40:41]
	v_fma_f64 v[22:23], v[22:23], 2.0, -v[42:43]
	v_fma_f64 v[20:21], v[32:33], 2.0, -v[60:61]
	v_fma_f64 v[32:33], v[34:35], 2.0, -v[62:63]
	v_fma_f64 v[24:25], v[24:25], 2.0, -v[52:53]
	v_fma_f64 v[26:27], v[26:27], 2.0, -v[54:55]
	v_add_f64 v[83:84], v[40:41], -v[62:63]
	v_add_f64 v[85:86], v[60:61], v[42:43]
	v_add_f64 v[34:35], v[52:53], -v[58:59]
	v_add_f64 v[60:61], v[54:55], v[56:57]
	v_fma_f64 v[30:31], v[30:31], 2.0, -v[58:59]
	v_fma_f64 v[28:29], v[28:29], 2.0, -v[56:57]
	;; [unrolled: 1-line block ×5, first 2 shown]
	v_add_f64 v[62:63], v[69:70], -v[20:21]
	v_add_f64 v[71:72], v[22:23], -v[32:33]
	v_fma_f64 v[20:21], v[12:13], 2.0, -v[44:45]
	v_fma_f64 v[87:88], v[40:41], 2.0, -v[83:84]
	;; [unrolled: 1-line block ×5, first 2 shown]
	v_add_f64 v[30:31], v[26:27], -v[30:31]
	v_add_f64 v[28:29], v[24:25], -v[28:29]
	;; [unrolled: 1-line block ×3, first 2 shown]
	v_add_f64 v[52:53], v[46:47], v[48:49]
	v_fma_f64 v[54:55], v[34:35], s[4:5], v[83:84]
	v_fma_f64 v[73:74], v[60:61], s[4:5], v[85:86]
	v_fma_f64 v[12:13], v[69:70], 2.0, -v[62:63]
	v_fma_f64 v[56:57], v[22:23], 2.0, -v[71:72]
	v_fma_f64 v[75:76], v[40:41], s[6:7], v[87:88]
	v_fma_f64 v[77:78], v[32:33], s[6:7], v[89:90]
	v_add_f64 v[91:92], v[62:63], -v[30:31]
	v_add_f64 v[93:94], v[28:29], v[71:72]
	v_fma_f64 v[18:19], v[44:45], 2.0, -v[42:43]
	v_fma_f64 v[44:45], v[46:47], 2.0, -v[52:53]
	;; [unrolled: 1-line block ×4, first 2 shown]
	v_fma_f64 v[30:31], v[60:61], s[6:7], v[54:55]
	v_fma_f64 v[34:35], v[34:35], s[4:5], v[73:74]
	v_add_f64 v[60:61], v[20:21], -v[14:15]
	v_add_f64 v[73:74], v[58:59], -v[16:17]
	v_mul_f64 v[69:70], v[42:43], s[4:5]
	v_fma_f64 v[32:33], v[32:33], s[6:7], v[75:76]
	v_fma_f64 v[40:41], v[40:41], s[4:5], v[77:78]
	v_fma_f64 v[26:27], v[62:63], 2.0, -v[91:92]
	v_fma_f64 v[28:29], v[71:72], 2.0, -v[93:94]
	v_mul_f64 v[75:76], v[52:53], s[4:5]
	v_mul_f64 v[71:72], v[18:19], s[4:5]
	;; [unrolled: 1-line block ×3, first 2 shown]
	v_add_f64 v[38:39], v[12:13], -v[22:23]
	v_add_f64 v[62:63], v[56:57], -v[24:25]
	v_fma_f64 v[36:37], v[83:84], 2.0, -v[30:31]
	v_fma_f64 v[48:49], v[85:86], 2.0, -v[34:35]
	v_mul_f64 v[44:45], v[91:92], s[4:5]
	v_mul_f64 v[54:55], v[93:94], s[4:5]
	v_fma_f64 v[42:43], v[87:88], 2.0, -v[32:33]
	v_fma_f64 v[50:51], v[89:90], 2.0, -v[40:41]
	v_mul_f64 v[46:47], v[26:27], s[4:5]
	v_mul_f64 v[52:53], v[28:29], s[4:5]
	s_and_saveexec_b32 s1, s0
	s_cbranch_execz .LBB0_13
; %bb.12:
	v_add_f64 v[8:9], v[4:5], -v[8:9]
	v_fma_f64 v[0:1], v[0:1], 2.0, -v[79:80]
	s_mov_b32 s5, 0x3fed906b
	s_mov_b32 s4, 0xcf328d46
	;; [unrolled: 1-line block ×3, first 2 shown]
	v_fma_f64 v[24:25], v[12:13], 2.0, -v[38:39]
	s_mov_b32 s7, 0xbfd87de2
	s_mov_b32 s9, 0x3fd87de2
	;; [unrolled: 1-line block ×3, first 2 shown]
	v_add_f64 v[14:15], v[8:9], -v[81:82]
	v_fma_f64 v[4:5], v[4:5], 2.0, -v[8:9]
	v_fma_f64 v[8:9], v[8:9], 2.0, -v[14:15]
	v_add_f64 v[16:17], v[69:70], v[14:15]
	v_add_f64 v[0:1], v[4:5], -v[0:1]
	v_add_f64 v[18:19], v[8:9], -v[71:72]
	v_add_f64 v[28:29], v[16:17], -v[75:76]
	v_add_f64 v[83:84], v[0:1], -v[73:74]
	v_fma_f64 v[16:17], v[20:21], 2.0, -v[60:61]
	v_fma_f64 v[4:5], v[4:5], 2.0, -v[0:1]
	v_add_f64 v[93:94], v[18:19], -v[77:78]
	v_fma_f64 v[87:88], v[14:15], 2.0, -v[28:29]
	v_fma_f64 v[0:1], v[0:1], 2.0, -v[83:84]
	v_fma_f64 v[12:13], v[30:31], s[4:5], v[28:29]
	v_add_f64 v[91:92], v[4:5], -v[16:17]
	v_add_f64 v[16:17], v[44:45], v[83:84]
	s_mov_b32 s5, 0xbfed906b
	v_fma_f64 v[8:9], v[8:9], 2.0, -v[93:94]
	v_fma_f64 v[18:19], v[36:37], s[6:7], v[87:88]
	v_add_f64 v[20:21], v[0:1], -v[46:47]
	v_fma_f64 v[22:23], v[32:33], s[8:9], v[93:94]
	v_fma_f64 v[4:5], v[4:5], 2.0, -v[91:92]
	v_fma_f64 v[14:15], v[34:35], s[6:7], v[12:13]
	v_add_f64 v[12:13], v[16:17], -v[54:55]
	v_fma_f64 v[26:27], v[42:43], s[4:5], v[8:9]
	v_fma_f64 v[18:19], v[48:49], s[4:5], v[18:19]
	v_add_f64 v[16:17], v[20:21], -v[52:53]
	v_add_f64 v[20:21], v[91:92], -v[62:63]
	v_fma_f64 v[22:23], v[40:41], s[4:5], v[22:23]
	v_add_f64 v[24:25], v[4:5], -v[24:25]
	v_fma_f64 v[85:86], v[28:29], 2.0, -v[14:15]
	v_fma_f64 v[83:84], v[83:84], 2.0, -v[12:13]
	v_fma_f64 v[26:27], v[50:51], s[6:7], v[26:27]
	v_fma_f64 v[89:90], v[87:88], 2.0, -v[18:19]
	v_fma_f64 v[87:88], v[0:1], 2.0, -v[16:17]
	;; [unrolled: 1-line block ×5, first 2 shown]
	v_lshl_add_u32 v0, v68, 7, 0
	v_fma_f64 v[97:98], v[8:9], 2.0, -v[26:27]
	ds_write_b128 v0, v[83:86] offset:48
	ds_write_b128 v0, v[16:19] offset:80
	;; [unrolled: 1-line block ×6, first 2 shown]
	ds_write_b128 v0, v[95:98]
	ds_write_b128 v0, v[12:15] offset:112
.LBB0_13:
	s_or_b32 exec_lo, exec_lo, s1
	v_lshl_add_u32 v83, v68, 3, 0
	s_waitcnt lgkmcnt(0)
	s_barrier
	buffer_gl0_inv
	ds_read_b64 v[0:1], v83
	ds_read_b64 v[4:5], v83 offset:2592
	ds_read_b64 v[8:9], v83 offset:5184
	;; [unrolled: 1-line block ×11, first 2 shown]
	s_waitcnt lgkmcnt(0)
	s_barrier
	buffer_gl0_inv
	s_and_saveexec_b32 s1, s0
	s_cbranch_execz .LBB0_15
; %bb.14:
	v_add_f64 v[10:11], v[6:7], -v[10:11]
	v_fma_f64 v[2:3], v[2:3], 2.0, -v[81:82]
	v_fma_f64 v[58:59], v[58:59], 2.0, -v[73:74]
	s_mov_b32 s6, 0xa6aea964
	s_mov_b32 s7, 0x3fd87de2
	;; [unrolled: 1-line block ×6, first 2 shown]
	v_fma_f64 v[56:57], v[56:57], 2.0, -v[62:63]
	v_add_f64 v[79:80], v[79:80], v[10:11]
	v_fma_f64 v[6:7], v[6:7], 2.0, -v[10:11]
	v_fma_f64 v[10:11], v[10:11], 2.0, -v[79:80]
	v_add_f64 v[2:3], v[6:7], -v[2:3]
	v_add_f64 v[75:76], v[79:80], v[75:76]
	v_add_f64 v[77:78], v[10:11], -v[77:78]
	v_add_f64 v[60:61], v[60:61], v[2:3]
	v_add_f64 v[69:70], v[69:70], v[75:76]
	v_fma_f64 v[6:7], v[6:7], 2.0, -v[2:3]
	v_add_f64 v[71:72], v[71:72], v[77:78]
	v_fma_f64 v[2:3], v[2:3], 2.0, -v[60:61]
	v_fma_f64 v[73:74], v[79:80], 2.0, -v[69:70]
	v_add_f64 v[58:59], v[6:7], -v[58:59]
	v_add_f64 v[54:55], v[54:55], v[60:61]
	v_fma_f64 v[10:11], v[10:11], 2.0, -v[71:72]
	v_add_f64 v[52:53], v[2:3], -v[52:53]
	v_fma_f64 v[62:63], v[48:49], s[8:9], v[73:74]
	v_fma_f64 v[40:41], v[40:41], s[6:7], v[71:72]
	v_fma_f64 v[6:7], v[6:7], 2.0, -v[58:59]
	v_fma_f64 v[75:76], v[50:51], s[4:5], v[10:11]
	s_mov_b32 s5, 0x3fed906b
	v_add_f64 v[48:49], v[46:47], v[52:53]
	v_fma_f64 v[77:78], v[34:35], s[4:5], v[69:70]
	v_add_f64 v[34:35], v[38:39], v[58:59]
	v_add_f64 v[38:39], v[44:45], v[54:55]
	v_fma_f64 v[50:51], v[36:37], s[4:5], v[62:63]
	v_fma_f64 v[36:37], v[32:33], s[4:5], v[40:41]
	v_add_f64 v[44:45], v[6:7], -v[56:57]
	v_fma_f64 v[46:47], v[42:43], s[6:7], v[75:76]
	v_fma_f64 v[40:41], v[30:31], s[6:7], v[77:78]
	v_fma_f64 v[30:31], v[58:59], 2.0, -v[34:35]
	v_fma_f64 v[52:53], v[60:61], 2.0, -v[38:39]
	;; [unrolled: 1-line block ×6, first 2 shown]
	v_mad_u32_u24 v2, 0x78, v68, v83
	v_fma_f64 v[58:59], v[10:11], 2.0, -v[46:47]
	v_fma_f64 v[54:55], v[69:70], 2.0, -v[40:41]
	ds_write_b128 v2, v[48:51] offset:80
	ds_write_b128 v2, v[34:37] offset:96
	;; [unrolled: 1-line block ×5, first 2 shown]
	ds_write_b128 v2, v[56:59]
	ds_write_b128 v2, v[52:55] offset:48
	ds_write_b128 v2, v[38:41] offset:112
.LBB0_15:
	s_or_b32 exec_lo, exec_lo, s1
	v_and_b32_e32 v63, 15, v68
	s_load_dwordx2 s[2:3], s[2:3], 0x0
	s_waitcnt lgkmcnt(0)
	s_barrier
	buffer_gl0_inv
	v_lshlrev_b32_e32 v2, 5, v63
	v_add_nc_u32_e32 v32, 0x144, v68
	v_add_nc_u32_e32 v31, 0x288, v68
	;; [unrolled: 1-line block ×3, first 2 shown]
	v_lshrrev_b32_e32 v91, 4, v68
	global_load_dwordx4 v[33:36], v2, s[12:13]
	v_and_b32_e32 v88, 15, v32
	v_and_b32_e32 v89, 15, v31
	;; [unrolled: 1-line block ×3, first 2 shown]
	v_mov_b32_e32 v92, 0xaaab
	s_mov_b32 s4, 0xe8584caa
	v_lshlrev_b32_e32 v3, 5, v88
	s_clause 0x2
	global_load_dwordx4 v[37:40], v2, s[12:13] offset:16
	global_load_dwordx4 v[41:44], v3, s[12:13]
	global_load_dwordx4 v[45:48], v3, s[12:13] offset:16
	v_lshlrev_b32_e32 v2, 5, v89
	v_lshlrev_b32_e32 v3, 5, v90
	s_clause 0x3
	global_load_dwordx4 v[49:52], v2, s[12:13]
	global_load_dwordx4 v[53:56], v2, s[12:13] offset:16
	global_load_dwordx4 v[57:60], v3, s[12:13]
	global_load_dwordx4 v[69:72], v3, s[12:13] offset:16
	ds_read_b64 v[2:3], v83 offset:10368
	ds_read_b64 v[6:7], v83 offset:20736
	;; [unrolled: 1-line block ×8, first 2 shown]
	s_mov_b32 s5, 0x3febb67a
	s_mov_b32 s7, 0xbfebb67a
	;; [unrolled: 1-line block ×3, first 2 shown]
	v_mov_b32_e32 v94, 0xe38f
	s_waitcnt vmcnt(7) lgkmcnt(7)
	v_mul_f64 v[75:76], v[2:3], v[35:36]
	v_mul_f64 v[35:36], v[28:29], v[35:36]
	s_waitcnt vmcnt(6) lgkmcnt(6)
	v_mul_f64 v[84:85], v[6:7], v[39:40]
	v_mul_f64 v[39:40], v[26:27], v[39:40]
	;; [unrolled: 3-line block ×3, first 2 shown]
	v_fma_f64 v[28:29], v[28:29], v[33:34], -v[75:76]
	v_fma_f64 v[2:3], v[2:3], v[33:34], v[35:36]
	s_waitcnt vmcnt(4) lgkmcnt(2)
	v_mul_f64 v[33:34], v[77:78], v[47:48]
	v_mul_f64 v[35:36], v[22:23], v[47:48]
	s_waitcnt vmcnt(3)
	v_mul_f64 v[47:48], v[61:62], v[51:52]
	s_waitcnt vmcnt(2) lgkmcnt(1)
	v_mul_f64 v[75:76], v[79:80], v[55:56]
	v_mul_f64 v[51:52], v[20:21], v[51:52]
	v_fma_f64 v[26:27], v[26:27], v[37:38], -v[84:85]
	v_fma_f64 v[6:7], v[6:7], v[37:38], v[39:40]
	s_waitcnt vmcnt(1)
	v_mul_f64 v[37:38], v[73:74], v[59:60]
	s_waitcnt vmcnt(0) lgkmcnt(0)
	v_mul_f64 v[39:40], v[81:82], v[71:72]
	v_fma_f64 v[24:25], v[24:25], v[41:42], -v[86:87]
	v_fma_f64 v[10:11], v[10:11], v[41:42], v[43:44]
	ds_read_b64 v[41:42], v83
	ds_read_b64 v[43:44], v83 offset:2592
	ds_read_b64 v[84:85], v83 offset:5184
	;; [unrolled: 1-line block ×3, first 2 shown]
	s_waitcnt lgkmcnt(0)
	s_barrier
	buffer_gl0_inv
	v_fma_f64 v[33:34], v[22:23], v[45:46], -v[33:34]
	v_fma_f64 v[35:36], v[77:78], v[45:46], v[35:36]
	v_mul_f64 v[45:46], v[18:19], v[55:56]
	v_mul_f64 v[55:56], v[14:15], v[59:60]
	;; [unrolled: 1-line block ×3, first 2 shown]
	v_fma_f64 v[47:48], v[20:21], v[49:50], -v[47:48]
	v_mul_u32_u24_e32 v21, 48, v91
	v_lshrrev_b32_e32 v22, 4, v32
	v_fma_f64 v[18:19], v[18:19], v[53:54], -v[75:76]
	v_fma_f64 v[14:15], v[14:15], v[57:58], -v[37:38]
	v_lshrrev_b32_e32 v37, 4, v30
	v_mul_u32_u24_sdwa v38, v68, v92 dst_sel:DWORD dst_unused:UNUSED_PAD src0_sel:WORD_0 src1_sel:DWORD
	v_fma_f64 v[16:17], v[16:17], v[69:70], -v[39:40]
	v_or_b32_e32 v21, v21, v63
	v_mul_u32_u24_e32 v63, 48, v22
	v_mul_u32_u24_e32 v71, 48, v37
	v_lshrrev_b32_e32 v22, 21, v38
	v_fma_f64 v[37:38], v[61:62], v[49:50], v[51:52]
	v_lshrrev_b32_e32 v23, 4, v31
	v_add_f64 v[51:52], v[28:29], v[26:27]
	v_add_f64 v[61:62], v[0:1], v[28:29]
	v_add_f64 v[28:29], v[28:29], -v[26:27]
	v_mov_b32_e32 v20, 5
	v_mul_u32_u24_e32 v23, 48, v23
	v_fma_f64 v[39:40], v[79:80], v[53:54], v[45:46]
	v_fma_f64 v[45:46], v[73:74], v[57:58], v[55:56]
	;; [unrolled: 1-line block ×3, first 2 shown]
	v_or_b32_e32 v59, v63, v88
	v_or_b32_e32 v23, v23, v89
	v_mul_lo_u16 v60, v22, 48
	v_add_f64 v[53:54], v[24:25], v[33:34]
	v_add_f64 v[55:56], v[47:48], v[18:19]
	v_lshl_add_u32 v88, v59, 3, 0
	v_lshl_add_u32 v89, v23, 3, 0
	v_add_f64 v[57:58], v[14:15], v[16:17]
	v_sub_nc_u16 v23, v68, v60
	v_add_f64 v[59:60], v[2:3], v[6:7]
	v_or_b32_e32 v63, v71, v90
	v_add_f64 v[71:72], v[10:11], v[35:36]
	v_add_f64 v[69:70], v[41:42], v[2:3]
	v_add_f64 v[2:3], v[2:3], -v[6:7]
	v_add_f64 v[73:74], v[4:5], v[24:25]
	v_add_f64 v[77:78], v[8:9], v[47:48]
	;; [unrolled: 1-line block ×3, first 2 shown]
	v_fma_f64 v[0:1], v[51:52], -0.5, v[0:1]
	v_add_f64 v[51:52], v[10:11], -v[35:36]
	v_add_f64 v[75:76], v[37:38], v[39:40]
	v_add_f64 v[10:11], v[43:44], v[10:11]
	v_add_f64 v[79:80], v[45:46], v[49:50]
	v_add_f64 v[24:25], v[24:25], -v[33:34]
	v_add_f64 v[47:48], v[47:48], -v[18:19]
	v_add_f64 v[14:15], v[14:15], -v[16:17]
	v_fma_f64 v[4:5], v[53:54], -0.5, v[4:5]
	v_add_f64 v[53:54], v[37:38], -v[39:40]
	v_fma_f64 v[8:9], v[55:56], -0.5, v[8:9]
	v_add_f64 v[55:56], v[45:46], -v[49:50]
	v_fma_f64 v[12:13], v[57:58], -0.5, v[12:13]
	v_add_f64 v[37:38], v[84:85], v[37:38]
	v_add_f64 v[45:46], v[86:87], v[45:46]
	v_fma_f64 v[41:42], v[59:60], -0.5, v[41:42]
	v_fma_f64 v[43:44], v[71:72], -0.5, v[43:44]
	v_add_f64 v[26:27], v[61:62], v[26:27]
	v_lshl_add_u32 v21, v21, 3, 0
	v_add_f64 v[33:34], v[73:74], v[33:34]
	v_add_f64 v[18:19], v[77:78], v[18:19]
	;; [unrolled: 1-line block ×3, first 2 shown]
	v_fma_f64 v[61:62], v[2:3], s[4:5], v[0:1]
	v_fma_f64 v[0:1], v[2:3], s[6:7], v[0:1]
	v_fma_f64 v[57:58], v[75:76], -0.5, v[84:85]
	v_add_f64 v[35:36], v[10:11], v[35:36]
	v_fma_f64 v[59:60], v[79:80], -0.5, v[86:87]
	v_lshlrev_b32_sdwa v71, v20, v23 dst_sel:DWORD dst_unused:UNUSED_PAD src0_sel:DWORD src1_sel:WORD_0
	v_lshl_add_u32 v63, v63, 3, 0
	v_mul_u32_u24_e32 v22, 0x480, v22
	v_fma_f64 v[2:3], v[51:52], s[4:5], v[4:5]
	v_fma_f64 v[4:5], v[51:52], s[6:7], v[4:5]
	;; [unrolled: 1-line block ×6, first 2 shown]
	v_add_f64 v[55:56], v[69:70], v[6:7]
	v_add_f64 v[37:38], v[37:38], v[39:40]
	;; [unrolled: 1-line block ×3, first 2 shown]
	v_fma_f64 v[45:46], v[28:29], s[6:7], v[41:42]
	v_fma_f64 v[28:29], v[28:29], s[4:5], v[41:42]
	;; [unrolled: 1-line block ×4, first 2 shown]
	ds_write2_b64 v21, v[26:27], v[61:62] offset1:16
	ds_write_b64 v21, v[0:1] offset:256
	ds_write2_b64 v88, v[33:34], v[2:3] offset1:16
	ds_write_b64 v88, v[4:5] offset:256
	;; [unrolled: 2-line block ×4, first 2 shown]
	v_fma_f64 v[43:44], v[47:48], s[6:7], v[57:58]
	v_fma_f64 v[47:48], v[47:48], s[4:5], v[57:58]
	;; [unrolled: 1-line block ×4, first 2 shown]
	s_waitcnt lgkmcnt(0)
	s_barrier
	buffer_gl0_inv
	ds_read_b64 v[6:7], v83
	ds_read_b64 v[4:5], v83 offset:2592
	ds_read_b64 v[2:3], v83 offset:5184
	;; [unrolled: 1-line block ×11, first 2 shown]
	s_waitcnt lgkmcnt(0)
	s_barrier
	buffer_gl0_inv
	ds_write2_b64 v21, v[55:56], v[45:46] offset1:16
	ds_write_b64 v21, v[28:29] offset:256
	ds_write2_b64 v88, v[35:36], v[41:42] offset1:16
	ds_write_b64 v88, v[24:25] offset:256
	;; [unrolled: 2-line block ×4, first 2 shown]
	s_waitcnt lgkmcnt(0)
	s_barrier
	buffer_gl0_inv
	s_clause 0x1
	global_load_dwordx4 v[24:27], v71, s[12:13] offset:512
	global_load_dwordx4 v[33:36], v71, s[12:13] offset:528
	v_mul_u32_u24_sdwa v21, v32, v92 dst_sel:DWORD dst_unused:UNUSED_PAD src0_sel:WORD_0 src1_sel:DWORD
	v_mul_u32_u24_sdwa v28, v31, v92 dst_sel:DWORD dst_unused:UNUSED_PAD src0_sel:WORD_0 src1_sel:DWORD
	v_lshrrev_b32_e32 v63, 21, v21
	v_mul_u32_u24_sdwa v21, v30, v92 dst_sel:DWORD dst_unused:UNUSED_PAD src0_sel:WORD_0 src1_sel:DWORD
	v_lshrrev_b32_e32 v90, 21, v28
	v_mul_lo_u16 v28, v63, 48
	v_lshrrev_b32_e32 v91, 21, v21
	v_mul_lo_u16 v21, v90, 48
	v_mul_u32_u24_e32 v63, 0x480, v63
	v_sub_nc_u16 v88, v32, v28
	v_mul_lo_u16 v28, v91, 48
	v_sub_nc_u16 v92, v31, v21
	v_lshlrev_b32_sdwa v21, v20, v88 dst_sel:DWORD dst_unused:UNUSED_PAD src0_sel:DWORD src1_sel:WORD_0
	v_sub_nc_u16 v93, v30, v28
	v_lshlrev_b32_sdwa v28, v20, v92 dst_sel:DWORD dst_unused:UNUSED_PAD src0_sel:DWORD src1_sel:WORD_0
	s_clause 0x1
	global_load_dwordx4 v[37:40], v21, s[12:13] offset:512
	global_load_dwordx4 v[41:44], v21, s[12:13] offset:528
	v_lshlrev_b32_sdwa v21, v20, v93 dst_sel:DWORD dst_unused:UNUSED_PAD src0_sel:DWORD src1_sel:WORD_0
	s_clause 0x3
	global_load_dwordx4 v[45:48], v28, s[12:13] offset:512
	global_load_dwordx4 v[49:52], v28, s[12:13] offset:528
	;; [unrolled: 1-line block ×4, first 2 shown]
	ds_read_b64 v[28:29], v83 offset:10368
	ds_read_b64 v[71:72], v83 offset:12960
	;; [unrolled: 1-line block ×8, first 2 shown]
	v_mov_b32_e32 v21, 3
	v_lshlrev_b32_sdwa v95, v21, v88 dst_sel:DWORD dst_unused:UNUSED_PAD src0_sel:DWORD src1_sel:WORD_0
	v_lshlrev_b32_sdwa v23, v21, v23 dst_sel:DWORD dst_unused:UNUSED_PAD src0_sel:DWORD src1_sel:WORD_0
	v_add3_u32 v63, 0, v63, v95
	v_add3_u32 v96, 0, v22, v23
	v_mul_u32_u24_sdwa v22, v68, v94 dst_sel:DWORD dst_unused:UNUSED_PAD src0_sel:WORD_0 src1_sel:DWORD
	v_lshrrev_b16 v95, 4, v30
	v_lshrrev_b32_e32 v23, 23, v22
	v_mul_u32_u24_e32 v22, 0x480, v90
	v_lshlrev_b32_sdwa v90, v21, v92 dst_sel:DWORD dst_unused:UNUSED_PAD src0_sel:DWORD src1_sel:WORD_0
	v_add3_u32 v90, 0, v22, v90
	v_mul_lo_u16 v22, 0x90, v23
	v_sub_nc_u16 v22, v68, v22
	s_waitcnt vmcnt(7) lgkmcnt(7)
	v_mul_f64 v[77:78], v[28:29], v[26:27]
	v_mul_f64 v[26:27], v[61:62], v[26:27]
	v_fma_f64 v[61:62], v[61:62], v[24:25], -v[77:78]
	s_waitcnt vmcnt(6) lgkmcnt(3)
	v_mul_f64 v[77:78], v[79:80], v[35:36]
	v_fma_f64 v[24:25], v[28:29], v[24:25], v[26:27]
	v_mul_f64 v[26:27], v[69:70], v[35:36]
	s_waitcnt vmcnt(5)
	v_mul_f64 v[28:29], v[71:72], v[39:40]
	s_waitcnt vmcnt(0) lgkmcnt(0)
	v_mul_f64 v[88:89], v[86:87], v[59:60]
	v_fma_f64 v[35:36], v[69:70], v[33:34], -v[77:78]
	v_mul_f64 v[69:70], v[81:82], v[43:44]
	v_fma_f64 v[26:27], v[79:80], v[33:34], v[26:27]
	v_mul_f64 v[33:34], v[73:74], v[47:48]
	v_mul_f64 v[77:78], v[84:85], v[51:52]
	;; [unrolled: 1-line block ×3, first 2 shown]
	v_fma_f64 v[28:29], v[16:17], v[37:38], -v[28:29]
	v_mul_f64 v[16:17], v[16:17], v[39:40]
	v_fma_f64 v[39:40], v[18:19], v[41:42], -v[69:70]
	v_mul_f64 v[18:19], v[18:19], v[43:44]
	;; [unrolled: 2-line block ×6, first 2 shown]
	v_fma_f64 v[16:17], v[71:72], v[37:38], v[16:17]
	v_add_f64 v[71:72], v[24:25], v[26:27]
	ds_read_b64 v[37:38], v83
	v_add_f64 v[77:78], v[24:25], -v[26:27]
	v_add_f64 v[79:80], v[4:5], v[28:29]
	v_mul_u32_u24_e32 v55, 0x480, v91
	v_lshlrev_b32_sdwa v56, v21, v93 dst_sel:DWORD dst_unused:UNUSED_PAD src0_sel:DWORD src1_sel:WORD_0
	v_mov_b32_e32 v93, 0x12f7
	v_add3_u32 v91, 0, v55, v56
	v_lshlrev_b32_sdwa v55, v20, v22 dst_sel:DWORD dst_unused:UNUSED_PAD src0_sel:DWORD src1_sel:WORD_0
	v_fma_f64 v[18:19], v[81:82], v[41:42], v[18:19]
	v_add_f64 v[41:42], v[61:62], v[35:36]
	v_fma_f64 v[12:13], v[73:74], v[45:46], v[12:13]
	v_add_f64 v[45:46], v[28:29], v[39:40]
	;; [unrolled: 2-line block ×4, first 2 shown]
	v_fma_f64 v[10:11], v[86:87], v[57:58], v[10:11]
	ds_read_b64 v[57:58], v83 offset:2592
	ds_read_b64 v[59:60], v83 offset:5184
	;; [unrolled: 1-line block ×3, first 2 shown]
	v_add_f64 v[73:74], v[6:7], v[61:62]
	s_waitcnt lgkmcnt(3)
	v_add_f64 v[24:25], v[37:38], v[24:25]
	v_add_f64 v[88:89], v[0:1], v[47:48]
	v_fma_f64 v[37:38], v[71:72], -0.5, v[37:38]
	v_add_f64 v[28:29], v[28:29], -v[39:40]
	v_add_f64 v[84:85], v[2:3], v[33:34]
	v_add_f64 v[33:34], v[33:34], -v[43:44]
	v_add_f64 v[47:48], v[47:48], -v[51:52]
	v_add_f64 v[39:40], v[79:80], v[39:40]
	s_waitcnt lgkmcnt(0)
	s_barrier
	buffer_gl0_inv
	v_add_f64 v[75:76], v[16:17], v[18:19]
	v_fma_f64 v[6:7], v[41:42], -0.5, v[6:7]
	v_add_f64 v[41:42], v[16:17], -v[18:19]
	v_fma_f64 v[4:5], v[45:46], -0.5, v[4:5]
	v_add_f64 v[81:82], v[12:13], v[14:15]
	v_add_f64 v[16:17], v[57:58], v[16:17]
	v_add_f64 v[45:46], v[12:13], -v[14:15]
	v_fma_f64 v[0:1], v[53:54], -0.5, v[0:1]
	v_add_f64 v[86:87], v[8:9], v[10:11]
	v_add_f64 v[53:54], v[61:62], -v[35:36]
	v_fma_f64 v[2:3], v[49:50], -0.5, v[2:3]
	v_add_f64 v[49:50], v[8:9], -v[10:11]
	v_add_f64 v[12:13], v[59:60], v[12:13]
	v_add_f64 v[8:9], v[69:70], v[8:9]
	;; [unrolled: 1-line block ×6, first 2 shown]
	v_add_co_u32 v55, s0, s12, v55
	v_add_co_ci_u32_e64 v56, null, s13, 0, s0
	v_fma_f64 v[57:58], v[75:76], -0.5, v[57:58]
	v_add_co_u32 v55, s0, 0x800, v55
	v_fma_f64 v[71:72], v[41:42], s[4:5], v[4:5]
	v_fma_f64 v[59:60], v[81:82], -0.5, v[59:60]
	v_add_f64 v[26:27], v[16:17], v[18:19]
	v_fma_f64 v[4:5], v[41:42], s[6:7], v[4:5]
	v_add_co_ci_u32_e64 v56, s0, 0, v56, s0
	v_fma_f64 v[61:62], v[86:87], -0.5, v[69:70]
	v_fma_f64 v[69:70], v[77:78], s[4:5], v[6:7]
	v_fma_f64 v[75:76], v[53:54], s[6:7], v[37:38]
	;; [unrolled: 1-line block ×8, first 2 shown]
	v_add_f64 v[49:50], v[12:13], v[14:15]
	v_add_f64 v[73:74], v[8:9], v[10:11]
	ds_write2_b64 v96, v[35:36], v[69:70] offset1:48
	ds_write_b64 v96, v[6:7] offset:768
	ds_write2_b64 v63, v[39:40], v[71:72] offset1:48
	ds_write_b64 v63, v[4:5] offset:768
	;; [unrolled: 2-line block ×4, first 2 shown]
	v_fma_f64 v[53:54], v[28:29], s[6:7], v[57:58]
	v_fma_f64 v[28:29], v[28:29], s[4:5], v[57:58]
	;; [unrolled: 1-line block ×6, first 2 shown]
	s_waitcnt lgkmcnt(0)
	s_barrier
	buffer_gl0_inv
	ds_read_b64 v[8:9], v83
	ds_read_b64 v[6:7], v83 offset:2592
	ds_read_b64 v[4:5], v83 offset:5184
	;; [unrolled: 1-line block ×11, first 2 shown]
	s_waitcnt lgkmcnt(0)
	s_barrier
	buffer_gl0_inv
	ds_write2_b64 v96, v[24:25], v[75:76] offset1:48
	ds_write_b64 v96, v[37:38] offset:768
	ds_write2_b64 v63, v[26:27], v[53:54] offset1:48
	ds_write_b64 v63, v[28:29] offset:768
	ds_write2_b64 v90, v[49:50], v[57:58] offset1:48
	ds_write_b64 v90, v[33:34] offset:768
	ds_write2_b64 v91, v[73:74], v[59:60] offset1:48
	ds_write_b64 v91, v[47:48] offset:768
	v_mul_u32_u24_sdwa v24, v32, v94 dst_sel:DWORD dst_unused:UNUSED_PAD src0_sel:WORD_0 src1_sel:DWORD
	s_waitcnt lgkmcnt(0)
	s_barrier
	buffer_gl0_inv
	s_clause 0x1
	global_load_dwordx4 v[33:36], v[55:56], off
	global_load_dwordx4 v[37:40], v[55:56], off offset:16
	v_lshrrev_b32_e32 v28, 23, v24
	v_mul_u32_u24_sdwa v25, v31, v94 dst_sel:DWORD dst_unused:UNUSED_PAD src0_sel:WORD_0 src1_sel:DWORD
	v_mul_u32_u24_sdwa v26, v30, v94 dst_sel:DWORD dst_unused:UNUSED_PAD src0_sel:WORD_0 src1_sel:DWORD
	v_lshrrev_b16 v94, 4, v31
	v_mul_lo_u16 v24, 0x90, v28
	v_lshrrev_b32_e32 v63, 23, v25
	v_lshrrev_b32_e32 v92, 23, v26
	v_sub_nc_u16 v24, v32, v24
	v_mul_lo_u16 v26, 0x90, v63
	v_mul_u32_u24_e32 v63, 0xd80, v63
	v_lshlrev_b32_sdwa v25, v20, v24 dst_sel:DWORD dst_unused:UNUSED_PAD src0_sel:DWORD src1_sel:WORD_0
	v_add_co_u32 v27, s0, s12, v25
	v_add_co_ci_u32_e64 v29, null, s13, 0, s0
	v_sub_nc_u16 v25, v31, v26
	v_add_co_u32 v26, s0, 0x800, v27
	v_add_co_ci_u32_e64 v27, s0, 0, v29, s0
	v_lshlrev_b32_sdwa v45, v20, v25 dst_sel:DWORD dst_unused:UNUSED_PAD src0_sel:DWORD src1_sel:WORD_0
	v_mul_lo_u16 v29, 0x90, v92
	v_mul_u32_u24_e32 v92, 0xd80, v92
	global_load_dwordx4 v[41:44], v[26:27], off
	v_add_co_u32 v49, s0, s12, v45
	global_load_dwordx4 v[45:48], v[26:27], off offset:16
	v_sub_nc_u16 v29, v30, v29
	v_add_co_ci_u32_e64 v50, null, s13, 0, s0
	v_add_co_u32 v26, s0, 0x800, v49
	v_lshlrev_b32_sdwa v53, v20, v29 dst_sel:DWORD dst_unused:UNUSED_PAD src0_sel:DWORD src1_sel:WORD_0
	v_add_co_ci_u32_e64 v27, s0, 0, v50, s0
	v_add_co_u32 v57, s0, s12, v53
	s_clause 0x1
	global_load_dwordx4 v[49:52], v[26:27], off
	global_load_dwordx4 v[53:56], v[26:27], off offset:16
	v_add_co_ci_u32_e64 v58, null, s13, 0, s0
	v_add_co_u32 v26, s0, 0x800, v57
	v_add_co_ci_u32_e64 v27, s0, 0, v58, s0
	s_clause 0x1
	global_load_dwordx4 v[57:60], v[26:27], off
	global_load_dwordx4 v[69:72], v[26:27], off offset:16
	ds_read_b64 v[26:27], v83 offset:10368
	ds_read_b64 v[73:74], v83 offset:12960
	;; [unrolled: 1-line block ×8, first 2 shown]
	v_cmp_gt_u32_e64 s0, 0x6c, v68
	s_waitcnt vmcnt(7) lgkmcnt(7)
	v_mul_f64 v[81:82], v[26:27], v[35:36]
	v_mul_f64 v[35:36], v[0:1], v[35:36]
	v_fma_f64 v[81:82], v[0:1], v[33:34], -v[81:82]
	s_waitcnt vmcnt(6) lgkmcnt(3)
	v_mul_f64 v[0:1], v[84:85], v[39:40]
	v_fma_f64 v[33:34], v[26:27], v[33:34], v[35:36]
	v_mul_f64 v[26:27], v[77:78], v[39:40]
	s_waitcnt vmcnt(5)
	v_mul_f64 v[35:36], v[73:74], v[43:44]
	v_mul_f64 v[39:40], v[61:62], v[43:44]
	v_fma_f64 v[43:44], v[77:78], v[37:38], -v[0:1]
	s_waitcnt vmcnt(4) lgkmcnt(2)
	v_mul_f64 v[77:78], v[86:87], v[47:48]
	v_fma_f64 v[37:38], v[84:85], v[37:38], v[26:27]
	v_mul_f64 v[26:27], v[18:19], v[47:48]
	v_add_nc_u32_e32 v84, 0xffffff94, v68
	v_mov_b32_e32 v1, 0
	s_waitcnt vmcnt(3)
	v_mul_f64 v[47:48], v[75:76], v[51:52]
	v_mul_f64 v[51:52], v[14:15], v[51:52]
	v_lshlrev_b32_e32 v0, 1, v68
	v_fma_f64 v[35:36], v[61:62], v[41:42], -v[35:36]
	v_fma_f64 v[39:40], v[73:74], v[41:42], v[39:40]
	s_waitcnt vmcnt(2) lgkmcnt(1)
	v_mul_f64 v[41:42], v[88:89], v[55:56]
	v_mul_f64 v[55:56], v[16:17], v[55:56]
	v_lshlrev_b64 v[61:62], 4, v[0:1]
	v_fma_f64 v[73:74], v[18:19], v[45:46], -v[77:78]
	s_waitcnt vmcnt(1)
	v_mul_f64 v[77:78], v[79:80], v[59:60]
	v_cndmask_b32_e64 v18, v84, v32, s0
	s_waitcnt vmcnt(0) lgkmcnt(0)
	v_mul_f64 v[84:85], v[90:91], v[71:72]
	v_fma_f64 v[45:46], v[86:87], v[45:46], v[26:27]
	v_fma_f64 v[14:15], v[14:15], v[49:50], -v[47:48]
	v_mul_f64 v[47:48], v[10:11], v[59:60]
	v_fma_f64 v[49:50], v[75:76], v[49:50], v[51:52]
	v_mul_u32_u24_sdwa v19, v94, v93 dst_sel:DWORD dst_unused:UNUSED_PAD src0_sel:WORD_0 src1_sel:DWORD
	v_mul_u32_u24_sdwa v86, v95, v93 dst_sel:DWORD dst_unused:UNUSED_PAD src0_sel:WORD_0 src1_sel:DWORD
	v_lshlrev_b32_e32 v0, 1, v18
	v_mul_u32_u24_e32 v87, 0xd80, v28
	v_fma_f64 v[16:17], v[16:17], v[53:54], -v[41:42]
	v_mul_f64 v[41:42], v[12:13], v[71:72]
	v_fma_f64 v[51:52], v[88:89], v[53:54], v[55:56]
	v_add_f64 v[53:54], v[81:82], v[43:44]
	v_mul_u32_u24_e32 v71, 0xd80, v23
	v_lshlrev_b32_sdwa v72, v21, v22 dst_sel:DWORD dst_unused:UNUSED_PAD src0_sel:DWORD src1_sel:WORD_0
	v_lshlrev_b32_sdwa v75, v21, v24 dst_sel:DWORD dst_unused:UNUSED_PAD src0_sel:DWORD src1_sel:WORD_0
	v_add_f64 v[22:23], v[8:9], v[81:82]
	ds_read_b64 v[55:56], v83
	v_lshlrev_b64 v[59:60], 4, v[0:1]
	v_lshrrev_b32_e32 v0, 17, v19
	v_fma_f64 v[10:11], v[10:11], v[57:58], -v[77:78]
	v_lshlrev_b32_sdwa v77, v21, v25 dst_sel:DWORD dst_unused:UNUSED_PAD src0_sel:DWORD src1_sel:WORD_0
	v_fma_f64 v[12:13], v[12:13], v[69:70], -v[84:85]
	v_add_f64 v[24:25], v[35:36], v[73:74]
	v_lshrrev_b32_e32 v19, 17, v86
	v_fma_f64 v[47:48], v[79:80], v[57:58], v[47:48]
	v_add_f64 v[57:58], v[33:34], v[37:38]
	v_add3_u32 v63, 0, v63, v77
	v_add3_u32 v93, 0, v87, v75
	v_add_f64 v[84:85], v[6:7], v[35:36]
	v_add_f64 v[81:82], v[81:82], -v[43:44]
	v_add_f64 v[88:89], v[4:5], v[14:15]
	v_fma_f64 v[41:42], v[90:91], v[69:70], v[41:42]
	ds_read_b64 v[69:70], v83 offset:2592
	v_add3_u32 v91, 0, v71, v72
	v_add_f64 v[71:72], v[39:40], v[45:46]
	v_lshlrev_b32_sdwa v90, v21, v29 dst_sel:DWORD dst_unused:UNUSED_PAD src0_sel:DWORD src1_sel:WORD_0
	v_add_f64 v[28:29], v[14:15], v[16:17]
	ds_read_b64 v[77:78], v83 offset:5184
	ds_read_b64 v[79:80], v83 offset:7776
	v_add_f64 v[86:87], v[49:50], v[51:52]
	v_fma_f64 v[8:9], v[53:54], -0.5, v[8:9]
	v_add_f64 v[22:23], v[22:23], v[43:44]
	s_waitcnt lgkmcnt(3)
	v_add_f64 v[43:44], v[55:56], v[33:34]
	v_add_f64 v[33:34], v[33:34], -v[37:38]
	v_add_f64 v[75:76], v[10:11], v[12:13]
	v_fma_f64 v[6:7], v[24:25], -0.5, v[6:7]
	v_add_f64 v[35:36], v[35:36], -v[73:74]
	v_add_f64 v[14:15], v[14:15], -v[16:17]
	v_fma_f64 v[55:56], v[57:58], -0.5, v[55:56]
	v_add_f64 v[57:58], v[2:3], v[10:11]
	v_add_f64 v[10:11], v[10:11], -v[12:13]
	v_add_f64 v[73:74], v[84:85], v[73:74]
	v_add_co_u32 v26, s0, s12, v61
	v_add_f64 v[53:54], v[47:48], v[41:42]
	s_waitcnt lgkmcnt(2)
	v_add_f64 v[24:25], v[69:70], v[39:40]
	v_add_f64 v[39:40], v[39:40], -v[45:46]
	v_fma_f64 v[69:70], v[71:72], -0.5, v[69:70]
	v_add_f64 v[71:72], v[47:48], -v[41:42]
	s_waitcnt lgkmcnt(0)
	v_add_f64 v[47:48], v[79:80], v[47:48]
	v_fma_f64 v[4:5], v[28:29], -0.5, v[4:5]
	v_add_f64 v[28:29], v[49:50], -v[51:52]
	v_add_f64 v[49:50], v[77:78], v[49:50]
	v_fma_f64 v[77:78], v[86:87], -0.5, v[77:78]
	v_add_f64 v[37:38], v[43:44], v[37:38]
	v_add_f64 v[16:17], v[88:89], v[16:17]
	v_fma_f64 v[2:3], v[75:76], -0.5, v[2:3]
	v_add_co_ci_u32_e64 v27, s0, s13, v62, s0
	v_add_co_u32 v61, s0, 0x1800, v26
	v_add_f64 v[12:13], v[57:58], v[12:13]
	v_fma_f64 v[57:58], v[33:34], s[4:5], v[8:9]
	v_fma_f64 v[8:9], v[33:34], s[6:7], v[8:9]
	v_add_co_ci_u32_e64 v62, s0, 0, v27, s0
	v_fma_f64 v[53:54], v[53:54], -0.5, v[79:80]
	v_add_f64 v[24:25], v[24:25], v[45:46]
	v_fma_f64 v[45:46], v[81:82], s[6:7], v[55:56]
	v_fma_f64 v[33:34], v[39:40], s[4:5], v[6:7]
	;; [unrolled: 1-line block ×3, first 2 shown]
	v_add_f64 v[41:42], v[47:48], v[41:42]
	v_fma_f64 v[47:48], v[81:82], s[4:5], v[55:56]
	v_fma_f64 v[39:40], v[28:29], s[4:5], v[4:5]
	v_add_f64 v[43:44], v[49:50], v[51:52]
	v_fma_f64 v[49:50], v[35:36], s[6:7], v[69:70]
	v_fma_f64 v[35:36], v[35:36], s[4:5], v[69:70]
	;; [unrolled: 1-line block ×7, first 2 shown]
	v_add3_u32 v90, 0, v92, v90
	s_barrier
	buffer_gl0_inv
	ds_write2_b64 v91, v[22:23], v[57:58] offset1:144
	ds_write_b64 v91, v[8:9] offset:2304
	ds_write2_b64 v93, v[73:74], v[33:34] offset1:144
	ds_write_b64 v93, v[6:7] offset:2304
	;; [unrolled: 2-line block ×4, first 2 shown]
	v_fma_f64 v[55:56], v[10:11], s[6:7], v[53:54]
	v_fma_f64 v[10:11], v[10:11], s[4:5], v[53:54]
	s_waitcnt lgkmcnt(0)
	s_barrier
	buffer_gl0_inv
	ds_read_b64 v[28:29], v83
	ds_read_b64 v[53:54], v83 offset:2592
	ds_read_b64 v[57:58], v83 offset:5184
	;; [unrolled: 1-line block ×11, first 2 shown]
	s_waitcnt lgkmcnt(0)
	s_barrier
	buffer_gl0_inv
	ds_write2_b64 v91, v[37:38], v[45:46] offset1:144
	ds_write_b64 v91, v[47:48] offset:2304
	ds_write2_b64 v93, v[24:25], v[49:50] offset1:144
	ds_write_b64 v93, v[35:36] offset:2304
	;; [unrolled: 2-line block ×4, first 2 shown]
	s_waitcnt lgkmcnt(0)
	s_barrier
	buffer_gl0_inv
	global_load_dwordx4 v[2:5], v[61:62], off offset:512
	v_mul_lo_u16 v6, 0x1b0, v0
	v_add_co_u32 v75, s0, 0x1a00, v26
	v_add_co_ci_u32_e64 v76, s0, 0, v27, s0
	v_add_co_u32 v8, s0, s12, v59
	v_mul_lo_u16 v7, 0x1b0, v19
	v_sub_nc_u16 v63, v31, v6
	v_add_co_ci_u32_e64 v9, s0, s13, v60, s0
	v_add_co_u32 v10, s0, 0x1800, v8
	v_sub_nc_u16 v6, v30, v7
	v_lshlrev_b32_sdwa v7, v20, v63 dst_sel:DWORD dst_unused:UNUSED_PAD src0_sel:DWORD src1_sel:WORD_0
	v_add_co_ci_u32_e64 v11, s0, 0, v9, s0
	v_add_co_u32 v14, s0, 0x1a00, v8
	v_add_co_ci_u32_e64 v15, s0, 0, v9, s0
	v_and_b32_e32 v92, 0xffff, v6
	v_add_co_u32 v12, s0, s12, v7
	global_load_dwordx4 v[6:9], v[75:76], off offset:16
	v_add_co_ci_u32_e64 v13, null, s13, 0, s0
	v_lshlrev_b32_e32 v16, 5, v92
	v_add_co_u32 v19, s0, 0x1a00, v12
	v_add_co_ci_u32_e64 v20, s0, 0, v13, s0
	v_add_co_u32 v33, s0, s12, v16
	v_add_co_ci_u32_e64 v34, null, s13, 0, s0
	v_add_co_u32 v22, s0, 0x1800, v12
	v_add_co_ci_u32_e64 v23, s0, 0, v13, s0
	v_add_co_u32 v37, s0, 0x1800, v33
	v_add_co_ci_u32_e64 v38, s0, 0, v34, s0
	v_add_co_u32 v41, s0, 0x1a00, v33
	s_clause 0x2
	global_load_dwordx4 v[10:13], v[10:11], off offset:512
	global_load_dwordx4 v[14:17], v[14:15], off offset:16
	;; [unrolled: 1-line block ×3, first 2 shown]
	v_add_co_ci_u32_e64 v42, s0, 0, v34, s0
	s_clause 0x2
	global_load_dwordx4 v[33:36], v[19:20], off offset:16
	global_load_dwordx4 v[37:40], v[37:38], off offset:512
	;; [unrolled: 1-line block ×3, first 2 shown]
	ds_read_b64 v[19:20], v83 offset:10368
	ds_read_b64 v[45:46], v83 offset:12960
	;; [unrolled: 1-line block ×8, first 2 shown]
	v_lshlrev_b32_sdwa v63, v21, v63 dst_sel:DWORD dst_unused:UNUSED_PAD src0_sel:DWORD src1_sel:WORD_0
	v_cmp_lt_u32_e64 s0, 0x6b, v68
	v_lshlrev_b32_e32 v18, 3, v18
	v_mul_u32_u24_e32 v0, 0x2880, v0
	v_add3_u32 v0, 0, v0, v63
	v_lshl_add_u32 v63, v92, 3, 0
	s_waitcnt vmcnt(7) lgkmcnt(7)
	v_mul_f64 v[51:52], v[19:20], v[4:5]
	v_mul_f64 v[4:5], v[71:72], v[4:5]
	v_fma_f64 v[51:52], v[71:72], v[2:3], -v[51:52]
	v_fma_f64 v[2:3], v[19:20], v[2:3], v[4:5]
	s_waitcnt vmcnt(6) lgkmcnt(3)
	v_mul_f64 v[71:72], v[55:56], v[8:9]
	v_mul_f64 v[4:5], v[81:82], v[8:9]
	s_waitcnt vmcnt(5)
	v_mul_f64 v[8:9], v[45:46], v[12:13]
	s_waitcnt vmcnt(4) lgkmcnt(2)
	v_mul_f64 v[19:20], v[59:60], v[16:17]
	v_fma_f64 v[71:72], v[81:82], v[6:7], -v[71:72]
	s_waitcnt vmcnt(3)
	v_mul_f64 v[81:82], v[47:48], v[24:25]
	v_fma_f64 v[4:5], v[55:56], v[6:7], v[4:5]
	s_waitcnt vmcnt(2) lgkmcnt(1)
	v_mul_f64 v[6:7], v[61:62], v[35:36]
	s_waitcnt vmcnt(1)
	v_mul_f64 v[55:56], v[49:50], v[39:40]
	s_waitcnt vmcnt(0) lgkmcnt(0)
	v_mul_f64 v[90:91], v[75:76], v[43:44]
	v_mul_f64 v[12:13], v[73:74], v[12:13]
	;; [unrolled: 1-line block ×7, first 2 shown]
	v_fma_f64 v[8:9], v[73:74], v[10:11], -v[8:9]
	v_fma_f64 v[19:20], v[84:85], v[14:15], -v[19:20]
	;; [unrolled: 1-line block ×6, first 2 shown]
	v_fma_f64 v[10:11], v[45:46], v[10:11], v[12:13]
	v_fma_f64 v[12:13], v[59:60], v[14:15], v[16:17]
	;; [unrolled: 1-line block ×3, first 2 shown]
	v_add_f64 v[35:36], v[51:52], v[71:72]
	ds_read_b64 v[33:34], v83
	v_fma_f64 v[14:15], v[47:48], v[22:23], v[24:25]
	v_fma_f64 v[21:22], v[49:50], v[37:38], v[39:40]
	ds_read_b64 v[39:40], v83 offset:2592
	v_fma_f64 v[23:24], v[75:76], v[41:42], v[43:44]
	v_add_f64 v[49:50], v[2:3], v[4:5]
	v_add_f64 v[59:60], v[28:29], v[51:52]
	v_add_f64 v[75:76], v[2:3], -v[4:5]
	ds_read_b64 v[43:44], v83 offset:5184
	ds_read_b64 v[45:46], v83 offset:7776
	v_cndmask_b32_e64 v79, 0, 0x2880, s0
	v_add_f64 v[84:85], v[53:54], v[8:9]
	v_add_f64 v[37:38], v[8:9], v[19:20]
	v_add_f64 v[51:52], v[51:52], -v[71:72]
	v_add_f64 v[8:9], v[8:9], -v[19:20]
	v_add3_u32 v90, 0, v79, v18
	v_add_f64 v[41:42], v[73:74], v[6:7]
	s_waitcnt lgkmcnt(0)
	v_add_f64 v[47:48], v[55:56], v[77:78]
	s_barrier
	v_add_f64 v[61:62], v[10:11], v[12:13]
	v_add_f64 v[2:3], v[33:34], v[2:3]
	v_fma_f64 v[28:29], v[35:36], -0.5, v[28:29]
	v_add_f64 v[35:36], v[10:11], -v[12:13]
	v_add_f64 v[10:11], v[39:40], v[10:11]
	v_add_f64 v[86:87], v[14:15], -v[16:17]
	v_add_f64 v[79:80], v[14:15], v[16:17]
	;; [unrolled: 2-line block ×3, first 2 shown]
	v_add_f64 v[14:15], v[43:44], v[14:15]
	v_add_f64 v[21:22], v[45:46], v[21:22]
	v_fma_f64 v[33:34], v[49:50], -0.5, v[33:34]
	v_add_f64 v[59:60], v[59:60], v[71:72]
	v_add_f64 v[49:50], v[73:74], -v[6:7]
	v_fma_f64 v[37:38], v[37:38], -0.5, v[53:54]
	v_add_f64 v[53:54], v[57:58], v[73:74]
	buffer_gl0_inv
	v_fma_f64 v[41:42], v[41:42], -0.5, v[57:58]
	v_add_f64 v[57:58], v[69:70], v[55:56]
	v_fma_f64 v[47:48], v[47:48], -0.5, v[69:70]
	v_add_f64 v[55:56], v[55:56], -v[77:78]
	v_fma_f64 v[39:40], v[61:62], -0.5, v[39:40]
	v_add_f64 v[61:62], v[2:3], v[4:5]
	v_fma_f64 v[4:5], v[75:76], s[4:5], v[28:29]
	v_add_f64 v[2:3], v[84:85], v[19:20]
	v_fma_f64 v[18:19], v[75:76], s[6:7], v[28:29]
	v_add_f64 v[28:29], v[10:11], v[12:13]
	v_fma_f64 v[43:44], v[79:80], -0.5, v[43:44]
	v_fma_f64 v[45:46], v[81:82], -0.5, v[45:46]
	v_add_f64 v[69:70], v[21:22], v[23:24]
	v_fma_f64 v[71:72], v[51:52], s[6:7], v[33:34]
	v_fma_f64 v[33:34], v[51:52], s[4:5], v[33:34]
	v_fma_f64 v[10:11], v[35:36], s[4:5], v[37:38]
	v_fma_f64 v[12:13], v[35:36], s[6:7], v[37:38]
	v_add_f64 v[6:7], v[53:54], v[6:7]
	v_fma_f64 v[35:36], v[86:87], s[4:5], v[41:42]
	v_fma_f64 v[37:38], v[86:87], s[6:7], v[41:42]
	v_add_f64 v[41:42], v[57:58], v[77:78]
	v_fma_f64 v[53:54], v[88:89], s[4:5], v[47:48]
	v_fma_f64 v[47:48], v[88:89], s[6:7], v[47:48]
	;; [unrolled: 3-line block ×3, first 2 shown]
	ds_write_b64 v83, v[59:60]
	ds_write_b64 v83, v[4:5] offset:3456
	ds_write_b64 v83, v[18:19] offset:6912
	ds_write_b64 v90, v[2:3]
	ds_write_b64 v90, v[10:11] offset:3456
	ds_write_b64 v90, v[12:13] offset:6912
	;; [unrolled: 3-line block ×3, first 2 shown]
	ds_write_b64 v63, v[41:42] offset:20736
	ds_write_b64 v63, v[53:54] offset:24192
	;; [unrolled: 1-line block ×3, first 2 shown]
	s_waitcnt lgkmcnt(0)
	s_barrier
	buffer_gl0_inv
	ds_read_b64 v[6:7], v83
	ds_read_b64 v[4:5], v83 offset:2592
	ds_read_b64 v[2:3], v83 offset:5184
	ds_read_b64 v[8:9], v83 offset:7776
	ds_read_b64 v[20:21], v83 offset:10368
	ds_read_b64 v[14:15], v83 offset:12960
	ds_read_b64 v[10:11], v83 offset:15552
	ds_read_b64 v[18:19], v83 offset:18144
	ds_read_b64 v[24:25], v83 offset:20736
	ds_read_b64 v[16:17], v83 offset:23328
	ds_read_b64 v[12:13], v83 offset:25920
	ds_read_b64 v[22:23], v83 offset:28512
	v_fma_f64 v[73:74], v[49:50], s[6:7], v[43:44]
	v_fma_f64 v[43:44], v[49:50], s[4:5], v[43:44]
	;; [unrolled: 1-line block ×4, first 2 shown]
	s_waitcnt lgkmcnt(0)
	s_barrier
	buffer_gl0_inv
	ds_write_b64 v83, v[61:62]
	ds_write_b64 v83, v[71:72] offset:3456
	ds_write_b64 v83, v[33:34] offset:6912
	ds_write_b64 v90, v[28:29]
	ds_write_b64 v90, v[51:52] offset:3456
	ds_write_b64 v90, v[39:40] offset:6912
	;; [unrolled: 3-line block ×3, first 2 shown]
	ds_write_b64 v63, v[69:70] offset:20736
	ds_write_b64 v63, v[49:50] offset:24192
	;; [unrolled: 1-line block ×3, first 2 shown]
	s_waitcnt lgkmcnt(0)
	s_barrier
	buffer_gl0_inv
	s_and_saveexec_b32 s0, vcc_lo
	s_cbranch_execz .LBB0_17
; %bb.16:
	v_lshlrev_b32_e32 v0, 1, v30
	v_add_co_u32 v33, vcc_lo, 0x5000, v26
	v_add_co_ci_u32_e32 v34, vcc_lo, 0, v27, vcc_lo
	v_lshlrev_b64 v[28:29], 4, v[0:1]
	v_lshlrev_b32_e32 v0, 1, v31
	v_mul_lo_u32 v69, s2, v67
	v_mul_hi_u32 v82, 0xca4587e7, v31
	v_lshlrev_b64 v[64:65], 4, v[64:65]
	v_lshlrev_b64 v[40:41], 4, v[0:1]
	v_add_co_u32 v26, vcc_lo, s12, v28
	v_lshlrev_b32_e32 v0, 1, v32
	v_add_co_ci_u32_e32 v27, vcc_lo, s13, v29, vcc_lo
	v_add_co_u32 v42, vcc_lo, 0x5000, v26
	v_lshlrev_b64 v[44:45], 4, v[0:1]
	v_add_co_ci_u32_e32 v43, vcc_lo, 0, v27, vcc_lo
	v_add_co_u32 v0, vcc_lo, s12, v40
	v_add_co_ci_u32_e32 v40, vcc_lo, s13, v41, vcc_lo
	v_add_co_u32 v41, vcc_lo, s12, v44
	;; [unrolled: 2-line block ×4, first 2 shown]
	s_clause 0x1
	global_load_dwordx4 v[26:29], v[33:34], off
	global_load_dwordx4 v[32:35], v[33:34], off offset:16
	v_add_co_ci_u32_e32 v57, vcc_lo, 0, v44, vcc_lo
	s_clause 0x5
	global_load_dwordx4 v[36:39], v[42:43], off
	global_load_dwordx4 v[40:43], v[42:43], off offset:16
	global_load_dwordx4 v[44:47], v[48:49], off
	global_load_dwordx4 v[48:51], v[48:49], off offset:16
	;; [unrolled: 2-line block ×3, first 2 shown]
	v_mul_lo_u32 v0, s3, v66
	v_mad_u64_u32 v[66:67], null, s2, v66, 0
	v_lshrrev_b32_e32 v90, 10, v82
	ds_read_b64 v[60:61], v83 offset:10368
	ds_read_b64 v[62:63], v83 offset:20736
	;; [unrolled: 1-line block ×11, first 2 shown]
	ds_read_b64 v[82:83], v83
	v_add3_u32 v67, v67, v69, v0
	v_mul_hi_u32 v0, 0xca4587e7, v30
	v_mov_b32_e32 v69, v1
	v_lshlrev_b64 v[66:67], 4, v[66:67]
	v_lshlrev_b64 v[68:69], 4, v[68:69]
	v_lshrrev_b32_e32 v91, 10, v0
	v_mad_u32_u24 v0, 0xa20, v90, v31
	v_add_co_u32 v31, vcc_lo, s10, v66
	v_add_co_ci_u32_e32 v90, vcc_lo, s11, v67, vcc_lo
	v_lshlrev_b64 v[66:67], 4, v[0:1]
	v_mad_u32_u24 v0, 0xa20, v91, v30
	v_add_co_u32 v30, vcc_lo, v31, v64
	v_add_co_ci_u32_e32 v31, vcc_lo, v90, v65, vcc_lo
	v_lshlrev_b64 v[0:1], 4, v[0:1]
	v_add_co_u32 v64, vcc_lo, v30, v68
	v_add_co_ci_u32_e32 v65, vcc_lo, v31, v69, vcc_lo
	v_add_co_u32 v66, vcc_lo, v30, v66
	v_add_co_ci_u32_e32 v67, vcc_lo, v31, v67, vcc_lo
	;; [unrolled: 2-line block ×5, first 2 shown]
	s_waitcnt vmcnt(7) lgkmcnt(11)
	v_mul_f64 v[0:1], v[28:29], v[60:61]
	v_mul_f64 v[30:31], v[26:27], v[60:61]
	s_waitcnt vmcnt(6) lgkmcnt(10)
	v_mul_f64 v[60:61], v[32:33], v[62:63]
	v_mul_f64 v[62:63], v[34:35], v[62:63]
	;; [unrolled: 3-line block ×4, first 2 shown]
	s_waitcnt vmcnt(1)
	v_mul_f64 v[98:99], v[54:55], v[74:75]
	v_mul_f64 v[74:75], v[52:53], v[74:75]
	s_waitcnt vmcnt(0) lgkmcnt(4)
	v_mul_f64 v[100:101], v[56:57], v[80:81]
	v_mul_f64 v[80:81], v[58:59], v[80:81]
	;; [unrolled: 1-line block ×6, first 2 shown]
	v_fma_f64 v[0:1], v[20:21], v[26:27], -v[0:1]
	v_fma_f64 v[20:21], v[20:21], v[28:29], v[30:31]
	v_fma_f64 v[26:27], v[24:25], v[34:35], v[60:61]
	v_fma_f64 v[24:25], v[24:25], v[32:33], -v[62:63]
	v_fma_f64 v[28:29], v[18:19], v[36:37], -v[90:91]
	v_fma_f64 v[18:19], v[18:19], v[38:39], v[70:71]
	v_fma_f64 v[30:31], v[22:23], v[42:43], v[92:93]
	v_fma_f64 v[22:23], v[22:23], v[40:41], -v[76:77]
	;; [unrolled: 4-line block ×3, first 2 shown]
	v_fma_f64 v[32:33], v[10:11], v[46:47], v[94:95]
	v_fma_f64 v[34:35], v[12:13], v[50:51], v[96:97]
	v_fma_f64 v[10:11], v[10:11], v[44:45], -v[72:73]
	v_fma_f64 v[12:13], v[12:13], v[48:49], -v[78:79]
	v_add_co_u32 v50, vcc_lo, 0x1000, v64
	v_add_co_ci_u32_e32 v51, vcc_lo, 0, v65, vcc_lo
	v_add_co_u32 v48, vcc_lo, 0x6000, v64
	v_add_f64 v[62:63], v[6:7], v[0:1]
	s_waitcnt lgkmcnt(0)
	v_add_f64 v[44:45], v[20:21], v[82:83]
	v_add_f64 v[16:17], v[20:21], v[26:27]
	;; [unrolled: 1-line block ×3, first 2 shown]
	v_add_f64 v[70:71], v[0:1], -v[24:25]
	v_add_f64 v[20:21], v[20:21], -v[26:27]
	v_add_f64 v[46:47], v[18:19], v[30:31]
	v_add_f64 v[54:55], v[28:29], v[22:23]
	;; [unrolled: 1-line block ×3, first 2 shown]
	v_add_f64 v[76:77], v[18:19], -v[30:31]
	v_add_f64 v[58:59], v[14:15], v[38:39]
	v_add_f64 v[60:61], v[36:37], v[40:41]
	;; [unrolled: 1-line block ×8, first 2 shown]
	v_add_f64 v[36:37], v[36:37], -v[40:41]
	v_add_f64 v[92:93], v[14:15], -v[38:39]
	;; [unrolled: 1-line block ×5, first 2 shown]
	v_add_co_ci_u32_e32 v49, vcc_lo, 0, v65, vcc_lo
	v_fma_f64 v[16:17], v[16:17], -0.5, v[82:83]
	v_fma_f64 v[42:43], v[42:43], -0.5, v[6:7]
	v_add_f64 v[82:83], v[14:15], v[88:89]
	v_fma_f64 v[46:47], v[46:47], -0.5, v[84:85]
	v_fma_f64 v[54:55], v[54:55], -0.5, v[8:9]
	v_add_f64 v[6:7], v[30:31], v[72:73]
	v_add_co_u32 v52, vcc_lo, 0xb000, v64
	v_fma_f64 v[58:59], v[58:59], -0.5, v[88:89]
	v_fma_f64 v[60:61], v[60:61], -0.5, v[4:5]
	;; [unrolled: 1-line block ×3, first 2 shown]
	v_add_f64 v[10:11], v[34:35], v[18:19]
	v_fma_f64 v[86:87], v[0:1], -0.5, v[2:3]
	v_add_f64 v[2:3], v[26:27], v[44:45]
	v_add_f64 v[0:1], v[62:63], v[24:25]
	;; [unrolled: 1-line block ×4, first 2 shown]
	v_add_co_ci_u32_e32 v53, vcc_lo, 0, v65, vcc_lo
	v_add_co_u32 v84, vcc_lo, 0x5000, v66
	v_add_co_ci_u32_e32 v85, vcc_lo, 0, v67, vcc_lo
	v_fma_f64 v[14:15], v[70:71], s[4:5], v[16:17]
	v_fma_f64 v[18:19], v[70:71], s[6:7], v[16:17]
	;; [unrolled: 1-line block ×4, first 2 shown]
	v_add_f64 v[22:23], v[38:39], v[82:83]
	v_add_f64 v[20:21], v[90:91], v[40:41]
	v_fma_f64 v[26:27], v[28:29], s[4:5], v[46:47]
	v_fma_f64 v[42:43], v[36:37], s[6:7], v[58:59]
	;; [unrolled: 1-line block ×12, first 2 shown]
	v_add_co_u32 v54, vcc_lo, 0xa000, v66
	v_add_co_ci_u32_e32 v55, vcc_lo, 0, v67, vcc_lo
	v_add_co_u32 v56, vcc_lo, 0x5000, v68
	v_add_co_ci_u32_e32 v57, vcc_lo, 0, v69, vcc_lo
	;; [unrolled: 2-line block ×3, first 2 shown]
	global_store_dwordx4 v[64:65], v[0:3], off
	global_store_dwordx4 v[102:103], v[16:19], off offset:256
	global_store_dwordx4 v[104:105], v[12:15], off offset:512
	;; [unrolled: 1-line block ×5, first 2 shown]
	global_store_dwordx4 v[66:67], v[8:11], off
	global_store_dwordx4 v[84:85], v[44:47], off offset:256
	global_store_dwordx4 v[54:55], v[32:35], off offset:512
	global_store_dwordx4 v[68:69], v[4:7], off
	global_store_dwordx4 v[56:57], v[28:31], off offset:256
	global_store_dwordx4 v[58:59], v[24:27], off offset:512
.LBB0_17:
	s_endpgm
	.section	.rodata,"a",@progbits
	.p2align	6, 0x0
	.amdhsa_kernel fft_rtc_fwd_len3888_factors_16_3_3_3_3_3_wgs_324_tpt_324_halfLds_dp_op_CI_CI_unitstride_sbrr_dirReg
		.amdhsa_group_segment_fixed_size 0
		.amdhsa_private_segment_fixed_size 0
		.amdhsa_kernarg_size 104
		.amdhsa_user_sgpr_count 6
		.amdhsa_user_sgpr_private_segment_buffer 1
		.amdhsa_user_sgpr_dispatch_ptr 0
		.amdhsa_user_sgpr_queue_ptr 0
		.amdhsa_user_sgpr_kernarg_segment_ptr 1
		.amdhsa_user_sgpr_dispatch_id 0
		.amdhsa_user_sgpr_flat_scratch_init 0
		.amdhsa_user_sgpr_private_segment_size 0
		.amdhsa_wavefront_size32 1
		.amdhsa_uses_dynamic_stack 0
		.amdhsa_system_sgpr_private_segment_wavefront_offset 0
		.amdhsa_system_sgpr_workgroup_id_x 1
		.amdhsa_system_sgpr_workgroup_id_y 0
		.amdhsa_system_sgpr_workgroup_id_z 0
		.amdhsa_system_sgpr_workgroup_info 0
		.amdhsa_system_vgpr_workitem_id 0
		.amdhsa_next_free_vgpr 106
		.amdhsa_next_free_sgpr 27
		.amdhsa_reserve_vcc 1
		.amdhsa_reserve_flat_scratch 0
		.amdhsa_float_round_mode_32 0
		.amdhsa_float_round_mode_16_64 0
		.amdhsa_float_denorm_mode_32 3
		.amdhsa_float_denorm_mode_16_64 3
		.amdhsa_dx10_clamp 1
		.amdhsa_ieee_mode 1
		.amdhsa_fp16_overflow 0
		.amdhsa_workgroup_processor_mode 1
		.amdhsa_memory_ordered 1
		.amdhsa_forward_progress 0
		.amdhsa_shared_vgpr_count 0
		.amdhsa_exception_fp_ieee_invalid_op 0
		.amdhsa_exception_fp_denorm_src 0
		.amdhsa_exception_fp_ieee_div_zero 0
		.amdhsa_exception_fp_ieee_overflow 0
		.amdhsa_exception_fp_ieee_underflow 0
		.amdhsa_exception_fp_ieee_inexact 0
		.amdhsa_exception_int_div_zero 0
	.end_amdhsa_kernel
	.text
.Lfunc_end0:
	.size	fft_rtc_fwd_len3888_factors_16_3_3_3_3_3_wgs_324_tpt_324_halfLds_dp_op_CI_CI_unitstride_sbrr_dirReg, .Lfunc_end0-fft_rtc_fwd_len3888_factors_16_3_3_3_3_3_wgs_324_tpt_324_halfLds_dp_op_CI_CI_unitstride_sbrr_dirReg
                                        ; -- End function
	.section	.AMDGPU.csdata,"",@progbits
; Kernel info:
; codeLenInByte = 11076
; NumSgprs: 29
; NumVgprs: 106
; ScratchSize: 0
; MemoryBound: 1
; FloatMode: 240
; IeeeMode: 1
; LDSByteSize: 0 bytes/workgroup (compile time only)
; SGPRBlocks: 3
; VGPRBlocks: 13
; NumSGPRsForWavesPerEU: 29
; NumVGPRsForWavesPerEU: 106
; Occupancy: 9
; WaveLimiterHint : 1
; COMPUTE_PGM_RSRC2:SCRATCH_EN: 0
; COMPUTE_PGM_RSRC2:USER_SGPR: 6
; COMPUTE_PGM_RSRC2:TRAP_HANDLER: 0
; COMPUTE_PGM_RSRC2:TGID_X_EN: 1
; COMPUTE_PGM_RSRC2:TGID_Y_EN: 0
; COMPUTE_PGM_RSRC2:TGID_Z_EN: 0
; COMPUTE_PGM_RSRC2:TIDIG_COMP_CNT: 0
	.text
	.p2alignl 6, 3214868480
	.fill 48, 4, 3214868480
	.type	__hip_cuid_6a4524fa5ba548c4,@object ; @__hip_cuid_6a4524fa5ba548c4
	.section	.bss,"aw",@nobits
	.globl	__hip_cuid_6a4524fa5ba548c4
__hip_cuid_6a4524fa5ba548c4:
	.byte	0                               ; 0x0
	.size	__hip_cuid_6a4524fa5ba548c4, 1

	.ident	"AMD clang version 19.0.0git (https://github.com/RadeonOpenCompute/llvm-project roc-6.4.0 25133 c7fe45cf4b819c5991fe208aaa96edf142730f1d)"
	.section	".note.GNU-stack","",@progbits
	.addrsig
	.addrsig_sym __hip_cuid_6a4524fa5ba548c4
	.amdgpu_metadata
---
amdhsa.kernels:
  - .args:
      - .actual_access:  read_only
        .address_space:  global
        .offset:         0
        .size:           8
        .value_kind:     global_buffer
      - .offset:         8
        .size:           8
        .value_kind:     by_value
      - .actual_access:  read_only
        .address_space:  global
        .offset:         16
        .size:           8
        .value_kind:     global_buffer
      - .actual_access:  read_only
        .address_space:  global
        .offset:         24
        .size:           8
        .value_kind:     global_buffer
      - .actual_access:  read_only
        .address_space:  global
        .offset:         32
        .size:           8
        .value_kind:     global_buffer
      - .offset:         40
        .size:           8
        .value_kind:     by_value
      - .actual_access:  read_only
        .address_space:  global
        .offset:         48
        .size:           8
        .value_kind:     global_buffer
      - .actual_access:  read_only
        .address_space:  global
        .offset:         56
        .size:           8
        .value_kind:     global_buffer
      - .offset:         64
        .size:           4
        .value_kind:     by_value
      - .actual_access:  read_only
        .address_space:  global
        .offset:         72
        .size:           8
        .value_kind:     global_buffer
      - .actual_access:  read_only
        .address_space:  global
        .offset:         80
        .size:           8
        .value_kind:     global_buffer
      - .actual_access:  read_only
        .address_space:  global
        .offset:         88
        .size:           8
        .value_kind:     global_buffer
      - .actual_access:  write_only
        .address_space:  global
        .offset:         96
        .size:           8
        .value_kind:     global_buffer
    .group_segment_fixed_size: 0
    .kernarg_segment_align: 8
    .kernarg_segment_size: 104
    .language:       OpenCL C
    .language_version:
      - 2
      - 0
    .max_flat_workgroup_size: 324
    .name:           fft_rtc_fwd_len3888_factors_16_3_3_3_3_3_wgs_324_tpt_324_halfLds_dp_op_CI_CI_unitstride_sbrr_dirReg
    .private_segment_fixed_size: 0
    .sgpr_count:     29
    .sgpr_spill_count: 0
    .symbol:         fft_rtc_fwd_len3888_factors_16_3_3_3_3_3_wgs_324_tpt_324_halfLds_dp_op_CI_CI_unitstride_sbrr_dirReg.kd
    .uniform_work_group_size: 1
    .uses_dynamic_stack: false
    .vgpr_count:     106
    .vgpr_spill_count: 0
    .wavefront_size: 32
    .workgroup_processor_mode: 1
amdhsa.target:   amdgcn-amd-amdhsa--gfx1030
amdhsa.version:
  - 1
  - 2
...

	.end_amdgpu_metadata
